;; amdgpu-corpus repo=ROCm/rocFFT kind=compiled arch=gfx906 opt=O3
	.text
	.amdgcn_target "amdgcn-amd-amdhsa--gfx906"
	.amdhsa_code_object_version 6
	.protected	fft_rtc_back_len1360_factors_17_5_16_wgs_255_tpt_85_halfLds_half_ip_CI_unitstride_sbrr_dirReg ; -- Begin function fft_rtc_back_len1360_factors_17_5_16_wgs_255_tpt_85_halfLds_half_ip_CI_unitstride_sbrr_dirReg
	.globl	fft_rtc_back_len1360_factors_17_5_16_wgs_255_tpt_85_halfLds_half_ip_CI_unitstride_sbrr_dirReg
	.p2align	8
	.type	fft_rtc_back_len1360_factors_17_5_16_wgs_255_tpt_85_halfLds_half_ip_CI_unitstride_sbrr_dirReg,@function
fft_rtc_back_len1360_factors_17_5_16_wgs_255_tpt_85_halfLds_half_ip_CI_unitstride_sbrr_dirReg: ; @fft_rtc_back_len1360_factors_17_5_16_wgs_255_tpt_85_halfLds_half_ip_CI_unitstride_sbrr_dirReg
; %bb.0:
	s_load_dwordx2 s[12:13], s[4:5], 0x50
	s_load_dwordx4 s[8:11], s[4:5], 0x0
	s_load_dwordx2 s[2:3], s[4:5], 0x18
	v_mul_u32_u24_e32 v1, 0x304, v0
	v_lshrrev_b32_e32 v1, 16, v1
	v_mad_u64_u32 v[1:2], s[0:1], s6, 3, v[1:2]
	v_mov_b32_e32 v5, 0
	s_waitcnt lgkmcnt(0)
	v_cmp_lt_u64_e64 s[0:1], s[10:11], 2
	v_mov_b32_e32 v2, v5
	v_mov_b32_e32 v3, 0
	;; [unrolled: 1-line block ×3, first 2 shown]
	s_and_b64 vcc, exec, s[0:1]
	v_mov_b32_e32 v4, 0
	v_mov_b32_e32 v9, v1
	s_cbranch_vccnz .LBB0_8
; %bb.1:
	s_load_dwordx2 s[0:1], s[4:5], 0x10
	s_add_u32 s6, s2, 8
	s_addc_u32 s7, s3, 0
	v_mov_b32_e32 v3, 0
	v_mov_b32_e32 v8, v2
	s_waitcnt lgkmcnt(0)
	s_add_u32 s16, s0, 8
	s_mov_b64 s[14:15], 1
	v_mov_b32_e32 v4, 0
	s_addc_u32 s17, s1, 0
	v_mov_b32_e32 v7, v1
.LBB0_2:                                ; =>This Inner Loop Header: Depth=1
	s_load_dwordx2 s[18:19], s[16:17], 0x0
                                        ; implicit-def: $vgpr9_vgpr10
	s_waitcnt lgkmcnt(0)
	v_or_b32_e32 v6, s19, v8
	v_cmp_ne_u64_e32 vcc, 0, v[5:6]
	s_and_saveexec_b64 s[0:1], vcc
	s_xor_b64 s[20:21], exec, s[0:1]
	s_cbranch_execz .LBB0_4
; %bb.3:                                ;   in Loop: Header=BB0_2 Depth=1
	v_cvt_f32_u32_e32 v2, s18
	v_cvt_f32_u32_e32 v6, s19
	s_sub_u32 s0, 0, s18
	s_subb_u32 s1, 0, s19
	v_mac_f32_e32 v2, 0x4f800000, v6
	v_rcp_f32_e32 v2, v2
	v_mul_f32_e32 v2, 0x5f7ffffc, v2
	v_mul_f32_e32 v6, 0x2f800000, v2
	v_trunc_f32_e32 v6, v6
	v_mac_f32_e32 v2, 0xcf800000, v6
	v_cvt_u32_f32_e32 v6, v6
	v_cvt_u32_f32_e32 v2, v2
	v_mul_lo_u32 v9, s0, v6
	v_mul_hi_u32 v10, s0, v2
	v_mul_lo_u32 v12, s1, v2
	v_mul_lo_u32 v11, s0, v2
	v_add_u32_e32 v9, v10, v9
	v_add_u32_e32 v9, v9, v12
	v_mul_hi_u32 v10, v2, v11
	v_mul_lo_u32 v12, v2, v9
	v_mul_hi_u32 v14, v2, v9
	v_mul_hi_u32 v13, v6, v11
	v_mul_lo_u32 v11, v6, v11
	v_mul_hi_u32 v15, v6, v9
	v_add_co_u32_e32 v10, vcc, v10, v12
	v_addc_co_u32_e32 v12, vcc, 0, v14, vcc
	v_mul_lo_u32 v9, v6, v9
	v_add_co_u32_e32 v10, vcc, v10, v11
	v_addc_co_u32_e32 v10, vcc, v12, v13, vcc
	v_addc_co_u32_e32 v11, vcc, 0, v15, vcc
	v_add_co_u32_e32 v9, vcc, v10, v9
	v_addc_co_u32_e32 v10, vcc, 0, v11, vcc
	v_add_co_u32_e32 v2, vcc, v2, v9
	v_addc_co_u32_e32 v6, vcc, v6, v10, vcc
	v_mul_lo_u32 v9, s0, v6
	v_mul_hi_u32 v10, s0, v2
	v_mul_lo_u32 v11, s1, v2
	v_mul_lo_u32 v12, s0, v2
	v_add_u32_e32 v9, v10, v9
	v_add_u32_e32 v9, v9, v11
	v_mul_lo_u32 v13, v2, v9
	v_mul_hi_u32 v14, v2, v12
	v_mul_hi_u32 v15, v2, v9
	;; [unrolled: 1-line block ×3, first 2 shown]
	v_mul_lo_u32 v12, v6, v12
	v_mul_hi_u32 v10, v6, v9
	v_add_co_u32_e32 v13, vcc, v14, v13
	v_addc_co_u32_e32 v14, vcc, 0, v15, vcc
	v_mul_lo_u32 v9, v6, v9
	v_add_co_u32_e32 v12, vcc, v13, v12
	v_addc_co_u32_e32 v11, vcc, v14, v11, vcc
	v_addc_co_u32_e32 v10, vcc, 0, v10, vcc
	v_add_co_u32_e32 v9, vcc, v11, v9
	v_addc_co_u32_e32 v10, vcc, 0, v10, vcc
	v_add_co_u32_e32 v2, vcc, v2, v9
	v_addc_co_u32_e32 v6, vcc, v6, v10, vcc
	v_mad_u64_u32 v[9:10], s[0:1], v7, v6, 0
	v_mul_hi_u32 v11, v7, v2
	v_add_co_u32_e32 v13, vcc, v11, v9
	v_addc_co_u32_e32 v14, vcc, 0, v10, vcc
	v_mad_u64_u32 v[9:10], s[0:1], v8, v2, 0
	v_mad_u64_u32 v[11:12], s[0:1], v8, v6, 0
	v_add_co_u32_e32 v2, vcc, v13, v9
	v_addc_co_u32_e32 v2, vcc, v14, v10, vcc
	v_addc_co_u32_e32 v6, vcc, 0, v12, vcc
	v_add_co_u32_e32 v2, vcc, v2, v11
	v_addc_co_u32_e32 v6, vcc, 0, v6, vcc
	v_mul_lo_u32 v11, s19, v2
	v_mul_lo_u32 v12, s18, v6
	v_mad_u64_u32 v[9:10], s[0:1], s18, v2, 0
	v_add3_u32 v10, v10, v12, v11
	v_sub_u32_e32 v11, v8, v10
	v_mov_b32_e32 v12, s19
	v_sub_co_u32_e32 v9, vcc, v7, v9
	v_subb_co_u32_e64 v11, s[0:1], v11, v12, vcc
	v_subrev_co_u32_e64 v12, s[0:1], s18, v9
	v_subbrev_co_u32_e64 v11, s[0:1], 0, v11, s[0:1]
	v_cmp_le_u32_e64 s[0:1], s19, v11
	v_cndmask_b32_e64 v13, 0, -1, s[0:1]
	v_cmp_le_u32_e64 s[0:1], s18, v12
	v_cndmask_b32_e64 v12, 0, -1, s[0:1]
	v_cmp_eq_u32_e64 s[0:1], s19, v11
	v_cndmask_b32_e64 v11, v13, v12, s[0:1]
	v_add_co_u32_e64 v12, s[0:1], 2, v2
	v_addc_co_u32_e64 v13, s[0:1], 0, v6, s[0:1]
	v_add_co_u32_e64 v14, s[0:1], 1, v2
	v_addc_co_u32_e64 v15, s[0:1], 0, v6, s[0:1]
	v_subb_co_u32_e32 v10, vcc, v8, v10, vcc
	v_cmp_ne_u32_e64 s[0:1], 0, v11
	v_cmp_le_u32_e32 vcc, s19, v10
	v_cndmask_b32_e64 v11, v15, v13, s[0:1]
	v_cndmask_b32_e64 v13, 0, -1, vcc
	v_cmp_le_u32_e32 vcc, s18, v9
	v_cndmask_b32_e64 v9, 0, -1, vcc
	v_cmp_eq_u32_e32 vcc, s19, v10
	v_cndmask_b32_e32 v9, v13, v9, vcc
	v_cmp_ne_u32_e32 vcc, 0, v9
	v_cndmask_b32_e32 v10, v6, v11, vcc
	v_cndmask_b32_e64 v6, v14, v12, s[0:1]
	v_cndmask_b32_e32 v9, v2, v6, vcc
.LBB0_4:                                ;   in Loop: Header=BB0_2 Depth=1
	s_andn2_saveexec_b64 s[0:1], s[20:21]
	s_cbranch_execz .LBB0_6
; %bb.5:                                ;   in Loop: Header=BB0_2 Depth=1
	v_cvt_f32_u32_e32 v2, s18
	s_sub_i32 s20, 0, s18
	v_rcp_iflag_f32_e32 v2, v2
	v_mul_f32_e32 v2, 0x4f7ffffe, v2
	v_cvt_u32_f32_e32 v2, v2
	v_mul_lo_u32 v6, s20, v2
	v_mul_hi_u32 v6, v2, v6
	v_add_u32_e32 v2, v2, v6
	v_mul_hi_u32 v2, v7, v2
	v_mul_lo_u32 v6, v2, s18
	v_add_u32_e32 v9, 1, v2
	v_sub_u32_e32 v6, v7, v6
	v_subrev_u32_e32 v10, s18, v6
	v_cmp_le_u32_e32 vcc, s18, v6
	v_cndmask_b32_e32 v6, v6, v10, vcc
	v_cndmask_b32_e32 v2, v2, v9, vcc
	v_add_u32_e32 v9, 1, v2
	v_cmp_le_u32_e32 vcc, s18, v6
	v_cndmask_b32_e32 v9, v2, v9, vcc
	v_mov_b32_e32 v10, v5
.LBB0_6:                                ;   in Loop: Header=BB0_2 Depth=1
	s_or_b64 exec, exec, s[0:1]
	v_mul_lo_u32 v2, v10, s18
	v_mul_lo_u32 v6, v9, s19
	v_mad_u64_u32 v[11:12], s[0:1], v9, s18, 0
	s_load_dwordx2 s[0:1], s[6:7], 0x0
	s_add_u32 s14, s14, 1
	v_add3_u32 v2, v12, v6, v2
	v_sub_co_u32_e32 v6, vcc, v7, v11
	v_subb_co_u32_e32 v2, vcc, v8, v2, vcc
	s_waitcnt lgkmcnt(0)
	v_mul_lo_u32 v2, s0, v2
	v_mul_lo_u32 v7, s1, v6
	v_mad_u64_u32 v[3:4], s[0:1], s0, v6, v[3:4]
	s_addc_u32 s15, s15, 0
	s_add_u32 s6, s6, 8
	v_add3_u32 v4, v7, v4, v2
	v_mov_b32_e32 v6, s10
	v_mov_b32_e32 v7, s11
	s_addc_u32 s7, s7, 0
	v_cmp_ge_u64_e32 vcc, s[14:15], v[6:7]
	s_add_u32 s16, s16, 8
	s_addc_u32 s17, s17, 0
	s_cbranch_vccnz .LBB0_8
; %bb.7:                                ;   in Loop: Header=BB0_2 Depth=1
	v_mov_b32_e32 v7, v9
	v_mov_b32_e32 v8, v10
	s_branch .LBB0_2
.LBB0_8:
	s_lshl_b64 s[0:1], s[10:11], 3
	s_add_u32 s0, s2, s0
	s_addc_u32 s1, s3, s1
	s_load_dwordx2 s[2:3], s[0:1], 0x0
	s_load_dwordx2 s[6:7], s[4:5], 0x20
	v_mov_b32_e32 v37, 0
                                        ; implicit-def: $vgpr11
                                        ; implicit-def: $vgpr26
                                        ; implicit-def: $vgpr12
                                        ; implicit-def: $vgpr27
                                        ; implicit-def: $vgpr13
                                        ; implicit-def: $vgpr28
                                        ; implicit-def: $vgpr14
                                        ; implicit-def: $vgpr29
                                        ; implicit-def: $vgpr15
                                        ; implicit-def: $vgpr30
                                        ; implicit-def: $vgpr16
                                        ; implicit-def: $vgpr31
                                        ; implicit-def: $vgpr17
                                        ; implicit-def: $vgpr33
                                        ; implicit-def: $vgpr18
                                        ; implicit-def: $vgpr19
                                        ; implicit-def: $vgpr34
                                        ; implicit-def: $vgpr20
                                        ; implicit-def: $vgpr35
                                        ; implicit-def: $vgpr21
                                        ; implicit-def: $vgpr36
                                        ; implicit-def: $vgpr22
                                        ; implicit-def: $vgpr38
                                        ; implicit-def: $vgpr23
                                        ; implicit-def: $vgpr39
                                        ; implicit-def: $vgpr24
                                        ; implicit-def: $vgpr40
                                        ; implicit-def: $vgpr25
                                        ; implicit-def: $vgpr41
	s_waitcnt lgkmcnt(0)
	v_mad_u64_u32 v[4:5], s[0:1], s2, v9, v[3:4]
	s_mov_b32 s0, 0x3030304
	v_mul_lo_u32 v2, s2, v10
	v_mul_lo_u32 v6, s3, v9
	v_mul_hi_u32 v3, v0, s0
	v_cmp_gt_u64_e32 vcc, s[6:7], v[9:10]
	v_add3_u32 v5, v6, v5, v2
	v_mul_u32_u24_e32 v2, 0x55, v3
	v_sub_u32_e32 v7, v0, v2
	v_mov_b32_e32 v0, 0
	v_mov_b32_e32 v6, 0
                                        ; implicit-def: $vgpr2
                                        ; implicit-def: $vgpr3
	s_and_saveexec_b64 s[2:3], vcc
	s_cbranch_execz .LBB0_12
; %bb.9:
	s_movk_i32 s0, 0x50
	v_cmp_gt_u32_e64 s[0:1], s0, v7
	v_mov_b32_e32 v37, 0
	v_mov_b32_e32 v0, 0
                                        ; implicit-def: $vgpr41
                                        ; implicit-def: $vgpr25
                                        ; implicit-def: $vgpr40
                                        ; implicit-def: $vgpr24
                                        ; implicit-def: $vgpr39
                                        ; implicit-def: $vgpr23
                                        ; implicit-def: $vgpr38
                                        ; implicit-def: $vgpr22
                                        ; implicit-def: $vgpr36
                                        ; implicit-def: $vgpr21
                                        ; implicit-def: $vgpr35
                                        ; implicit-def: $vgpr20
                                        ; implicit-def: $vgpr34
                                        ; implicit-def: $vgpr19
                                        ; implicit-def: $vgpr18
                                        ; implicit-def: $vgpr33
                                        ; implicit-def: $vgpr17
                                        ; implicit-def: $vgpr31
                                        ; implicit-def: $vgpr16
                                        ; implicit-def: $vgpr30
                                        ; implicit-def: $vgpr15
                                        ; implicit-def: $vgpr29
                                        ; implicit-def: $vgpr14
                                        ; implicit-def: $vgpr28
                                        ; implicit-def: $vgpr13
                                        ; implicit-def: $vgpr27
                                        ; implicit-def: $vgpr12
                                        ; implicit-def: $vgpr26
                                        ; implicit-def: $vgpr11
                                        ; implicit-def: $vgpr3
                                        ; implicit-def: $vgpr2
	s_and_saveexec_b64 s[4:5], s[0:1]
	s_cbranch_execz .LBB0_11
; %bb.10:
	v_lshlrev_b64 v[2:3], 2, v[4:5]
	v_mov_b32_e32 v8, 0
	v_mov_b32_e32 v0, s13
	v_add_co_u32_e64 v6, s[0:1], s12, v2
	v_addc_co_u32_e64 v0, s[0:1], v0, v3, s[0:1]
	v_lshlrev_b64 v[2:3], 2, v[7:8]
	v_add_co_u32_e64 v9, s[0:1], v6, v2
	v_addc_co_u32_e64 v10, s[0:1], v0, v3, s[0:1]
	s_movk_i32 s0, 0x1000
	v_add_co_u32_e64 v11, s[0:1], s0, v9
	global_load_dword v22, v[9:10], off
	global_load_dword v3, v[9:10], off offset:320
	global_load_dword v26, v[9:10], off offset:640
	;; [unrolled: 1-line block ×7, first 2 shown]
	v_addc_co_u32_e64 v12, s[0:1], 0, v10, s[0:1]
	global_load_dword v33, v[9:10], off offset:2560
	global_load_dword v23, v[9:10], off offset:2880
	;; [unrolled: 1-line block ×8, first 2 shown]
	v_or_b32_e32 v9, 0x500, v7
	v_mov_b32_e32 v10, v8
	v_lshlrev_b64 v[8:9], 2, v[9:10]
	v_add_co_u32_e64 v8, s[0:1], v6, v8
	v_addc_co_u32_e64 v9, s[0:1], v0, v9, s[0:1]
	global_load_dword v41, v[8:9], off
	s_mov_b32 s0, 0x5040100
	s_waitcnt vmcnt(16)
	v_lshrrev_b32_e32 v0, 16, v22
	s_waitcnt vmcnt(15)
	v_lshrrev_b32_e32 v2, 16, v3
	;; [unrolled: 2-line block ×13, first 2 shown]
	v_perm_b32 v37, v22, v23, s0
	s_waitcnt vmcnt(3)
	v_lshrrev_b32_e32 v22, 16, v38
	s_waitcnt vmcnt(2)
	v_lshrrev_b32_e32 v23, 16, v39
	;; [unrolled: 2-line block ×4, first 2 shown]
.LBB0_11:
	s_or_b64 exec, exec, s[4:5]
	v_mov_b32_e32 v6, v7
.LBB0_12:
	s_or_b64 exec, exec, s[2:3]
	s_mov_b32 s0, 0xaaaaaaab
	v_mul_hi_u32 v8, v1, s0
	s_mov_b32 s0, 0xb5c8b964
	v_sub_f16_e32 v53, v2, v25
	v_add_f16_e32 v61, v3, v41
	v_lshrrev_b32_e32 v8, 1, v8
	s_mov_b32 s4, 0x3b7639e9
	v_lshl_add_u32 v8, v8, 1, v8
	v_pk_mul_f16 v69, v53, s0 op_sel_hi:[0,1]
	s_mov_b32 s0, 0xb964bbf7
	v_sub_f16_e32 v54, v11, v24
	v_sub_u32_e32 v1, v1, v8
	v_pk_fma_f16 v8, v61, s4, v69 op_sel_hi:[0,1,1] neg_lo:[0,0,1] neg_hi:[0,0,1]
	s_mov_b32 s5, 0x39e92de8
	v_add_f16_e32 v63, v26, v40
	v_pk_mul_f16 v71, v54, s0 op_sel_hi:[0,1]
	s_mov_b32 s0, 0xbb29ba62
	v_sub_f16_e32 v55, v12, v23
	v_pk_add_f16 v8, v37, v8 op_sel:[1,0]
	v_pk_fma_f16 v9, v63, s5, v71 op_sel_hi:[0,1,1] neg_lo:[0,0,1] neg_hi:[0,0,1]
	s_mov_b32 s6, 0x3722b8d2
	v_add_f16_e32 v64, v27, v39
	v_pk_mul_f16 v72, v55, s0 op_sel_hi:[0,1]
	s_mov_b32 s0, 0xbbf7b1e1
	v_sub_f16_e32 v56, v13, v22
	v_pk_add_f16 v8, v9, v8
	v_pk_fma_f16 v9, v64, s6, v72 op_sel_hi:[0,1,1] neg_lo:[0,0,1] neg_hi:[0,0,1]
	s_mov_b32 s7, 0x2de8bbdd
	v_add_f16_e32 v65, v28, v38
	v_pk_mul_f16 v73, v56, s0 op_sel_hi:[0,1]
	s_mov_b32 s0, 0xbbb23836
	v_sub_f16_e32 v57, v14, v21
	v_pk_add_f16 v8, v9, v8
	v_pk_fma_f16 v9, v65, s7, v73 op_sel_hi:[0,1,1] neg_lo:[0,0,1] neg_hi:[0,0,1]
	s_mov_b32 s14, 0xb461bacd
	v_add_f16_e32 v66, v29, v36
	v_pk_mul_f16 v74, v57, s0 op_sel_hi:[0,1]
	s_mov_b32 s0, 0xba623bb2
	v_sub_f16_e32 v58, v15, v20
	v_pk_add_f16 v8, v9, v8
	v_pk_fma_f16 v9, v66, s14, v74 op_sel_hi:[0,1,1] neg_lo:[0,0,1] neg_hi:[0,0,1]
	s_mov_b32 s15, 0xb8d2b461
	v_add_f16_e32 v67, v30, v35
	v_pk_mul_f16 v75, v58, s0 op_sel_hi:[0,1]
	s_mov_b32 s0, 0xb8363b29
	v_sub_f16_e32 v59, v16, v19
	v_pk_add_f16 v8, v9, v8
	v_pk_fma_f16 v9, v67, s15, v75 op_sel_hi:[0,1,1] neg_lo:[0,0,1] neg_hi:[0,0,1]
	s_mov_b32 s11, 0xbacd3722
	v_add_f16_e32 v68, v31, v34
	v_pk_mul_f16 v76, v59, s0 op_sel_hi:[0,1]
	s_mov_b32 s0, 0xb1e135c8
	v_sub_f16_e32 v62, v17, v18
	v_pk_add_f16 v8, v9, v8
	v_pk_fma_f16 v9, v68, s11, v76 op_sel_hi:[0,1,1] neg_lo:[0,0,1] neg_hi:[0,0,1]
	s_mov_b32 s10, 0xbbdd3b76
	v_add_f16_e32 v60, v33, v37
	v_pk_mul_f16 v70, v62, s0 op_sel_hi:[0,1]
	v_pk_add_f16 v8, v9, v8
	v_pk_fma_f16 v9, v60, s10, v70 op_sel_hi:[0,1,1] neg_lo:[0,0,1] neg_hi:[0,0,1]
	v_mul_u32_u24_e32 v1, 0x550, v1
	s_movk_i32 s0, 0x50
	v_pk_add_f16 v9, v9, v8
	v_cmp_gt_u32_e64 s[2:3], s0, v7
	v_lshlrev_b32_e32 v8, 1, v1
	s_and_saveexec_b64 s[0:1], s[2:3]
	s_cbranch_execz .LBB0_14
; %bb.13:
	v_pk_mul_f16 v77, v61, s4 op_sel_hi:[0,1]
	s_mov_b32 s4, 0x7060302
	v_pk_mul_f16 v81, v66, s14 op_sel_hi:[0,1]
	v_mul_f16_e32 v84, 0x3722, v61
	s_mov_b32 s14, 0xbb29
	v_perm_b32 v51, v37, v37, s4
	s_mov_b32 s4, 0xba62
	v_mul_f16_e32 v85, 0xb8d2, v63
	v_fma_f16 v90, v53, s14, v84
	v_pk_mul_f16 v79, v64, s6 op_sel_hi:[0,1]
	s_movk_i32 s6, 0x31e1
	v_mul_f16_e32 v86, 0xbbdd, v64
	v_add_f16_sdwa v90, v37, v90 dst_sel:DWORD dst_unused:UNUSED_PAD src0_sel:WORD_1 src1_sel:DWORD
	v_fma_f16 v91, v54, s4, v85
	v_mul_f16_e32 v87, 0xb461, v65
	v_add_f16_e32 v90, v91, v90
	v_fma_f16 v91, v55, s6, v86
	s_movk_i32 s14, 0x3bb2
	v_pk_mul_f16 v78, v63, s5 op_sel_hi:[0,1]
	s_movk_i32 s5, 0x3964
	v_mul_f16_e32 v88, 0x39e9, v66
	v_add_f16_e32 v90, v91, v90
	v_fma_f16 v91, v56, s14, v87
	v_pk_mul_f16 v80, v65, s7 op_sel_hi:[0,1]
	s_mov_b32 s7, 0xb5c8
	v_mul_f16_e32 v89, 0x3b76, v67
	v_add_f16_e32 v90, v91, v90
	v_fma_f16 v91, v57, s5, v88
	v_add_f16_e32 v90, v91, v90
	v_fma_f16 v91, v58, s7, v89
	v_alignbit_b32 v83, s0, v37, 16
	v_add_f16_e32 v90, v91, v90
	v_pk_add_f16 v91, v69, v77
	v_pk_add_f16 v83, v83, v91
	v_pk_mul_f16 v91, v68, s11 op_sel_hi:[0,1]
	v_pk_add_f16 v76, v76, v91
	v_add_f16_sdwa v91, v37, v3 dst_sel:DWORD dst_unused:UNUSED_PAD src0_sel:WORD_1 src1_sel:DWORD
	v_add_f16_e32 v91, v91, v26
	v_add_f16_e32 v91, v91, v27
	;; [unrolled: 1-line block ×3, first 2 shown]
	v_pack_b32_f16 v47, v61, v61
	v_pk_add_f16 v73, v73, v80
	v_pk_mul_f16 v80, v60, s10 op_sel_hi:[0,1]
	s_mov_b32 s10, 0xb4612de8
	v_add_f16_e32 v91, v91, v29
	v_pack_b32_f16 v48, v63, v63
	v_pk_mul_f16 v82, v67, s15 op_sel_hi:[0,1]
	v_pk_add_f16 v74, v74, v81
	v_pk_mul_f16 v81, v47, s10
	s_mov_b32 s10, 0xbacdbbdd
	v_add_f16_e32 v91, v91, v30
	v_pk_add_f16 v75, v75, v82
	v_pk_mul_f16 v82, v48, s10
	v_add_f16_e32 v91, v91, v31
	s_mov_b32 s10, 0xffff
	v_bfi_b32 v69, s10, v91, v69
	v_bfi_b32 v77, s10, v33, v77
	v_pk_add_f16 v71, v71, v78
	v_pk_add_f16 v69, v69, v77
	;; [unrolled: 1-line block ×5, first 2 shown]
	v_bfi_b32 v71, s10, v34, v71
	v_pk_add_f16 v69, v69, v71
	v_pk_add_f16 v71, v72, v83
	v_bfi_b32 v72, s10, v35, v72
	v_pack_b32_f16 v45, v64, v64
	s_mov_b32 s11, 0x39e9b461
	v_pk_add_f16 v69, v69, v72
	v_bfi_b32 v72, s10, v36, v73
	v_pack_b32_f16 v43, v65, v65
	v_pk_mul_f16 v91, v45, s11
	s_mov_b32 s11, 0x37223b76
	v_pk_add_f16 v69, v69, v72
	v_bfi_b32 v72, s10, v38, v74
	v_pack_b32_f16 v32, v66, v66
	v_pk_mul_f16 v77, v43, s11
	s_mov_b32 s11, 0xbbdd3722
	v_pk_add_f16 v71, v73, v71
	v_pk_add_f16 v69, v69, v72
	v_bfi_b32 v72, s10, v39, v75
	v_pack_b32_f16 v10, v67, v67
	v_pk_mul_f16 v92, v32, s11
	s_mov_b32 s11, 0x2de8bacd
	v_pk_add_f16 v71, v74, v71
	;; [unrolled: 6-line block ×3, first 2 shown]
	v_pk_add_f16 v69, v69, v72
	v_mul_f16_e32 v72, 0xbacd, v60
	v_mul_f16_e32 v75, 0xb836, v62
	v_pk_mul_f16 v73, v1, s11
	v_mul_f16_e32 v74, 0x2de8, v68
	v_pack_b32_f16 v71, v71, v72
	s_mov_b32 s11, 0xbbf7
	v_pack_b32_f16 v72, v76, v75
	v_pk_add_f16 v71, v72, v71
	v_fma_f16 v72, v59, s11, v74
	s_mov_b32 s11, 0x5040100
	v_perm_b32 v72, v72, v70, s11
	v_pk_add_f16 v70, v70, v80
	v_perm_b32 v76, v90, v80, s11
	v_pack_b32_f16 v50, v53, v53
	v_bfi_b32 v70, s10, v41, v70
	v_pk_add_f16 v72, v72, v76
	s_mov_b32 s11, 0xbbb2bbf7
	v_pack_b32_f16 v52, v54, v54
	v_pk_add_f16 v69, v69, v70
	v_pk_add_f16 v70, v71, v72
	s_mov_b32 s14, 0x3836b1e1
	v_pk_fma_f16 v71, v50, s11, v81
	v_pack_b32_f16 v49, v55, v55
	v_pk_add_f16 v71, v51, v71
	v_pk_fma_f16 v72, v52, s14, v82
	s_mov_b32 s11, 0x39643bb2
	v_pack_b32_f16 v46, v56, v56
	v_pk_add_f16 v71, v72, v71
	v_pk_fma_f16 v72, v49, s11, v91
	s_mov_b32 s11, 0xbb2935c8
	;; [unrolled: 4-line block ×4, first 2 shown]
	v_pack_b32_f16 v78, v59, v59
	v_pack_b32_f16 v79, v60, v60
	v_pk_add_f16 v71, v72, v71
	s_mov_b32 s14, 0xb5c83a62
	v_pk_fma_f16 v72, v42, s11, v83
	s_mov_b32 s11, 0xb8d239e9
	v_pk_add_f16 v71, v72, v71
	v_pk_fma_f16 v72, v78, s14, v73
	v_pack_b32_f16 v76, v62, v62
	s_mov_b32 s14, 0xba623964
	v_pk_mul_f16 v80, v79, s11
	s_mov_b32 s11, 0xbacdb8d2
	v_pk_add_f16 v71, v72, v71
	v_pk_fma_f16 v72, v76, s14, v80
	s_mov_b32 s14, 0xb836ba62
	s_mov_b32 s15, 0x3722b461
	v_pk_mul_f16 v90, v47, s11
	v_pk_add_f16 v71, v72, v71
	s_mov_b32 s16, 0x3b293bb2
	v_pk_fma_f16 v72, v50, s14, v90
	v_pk_mul_f16 v93, v48, s15
	v_pk_add_f16 v72, v51, v72
	v_pk_fma_f16 v94, v52, s16, v93
	s_mov_b32 s11, 0x2de83b76
	v_pk_add_f16 v72, v94, v72
	s_mov_b32 s15, 0xbbf7b5c8
	v_pk_mul_f16 v94, v45, s11
	v_pk_fma_f16 v95, v49, s15, v94
	s_mov_b32 s11, 0xb8d2bacd
	v_pk_add_f16 v72, v95, v72
	s_mov_b32 s17, 0x3a62b836
	v_pk_mul_f16 v95, v43, s11
	;; [unrolled: 5-line block ×6, first 2 shown]
	v_pk_fma_f16 v100, v76, s21, v99
	v_pk_add_f16 v72, v100, v72
	v_mul_u32_u24_e32 v100, 34, v7
	v_add3_u32 v100, 0, v100, v8
	v_mul_f16_e32 v61, 0xbbdd, v61
	s_mov_b32 s11, 0xb1e1
	ds_write_b128 v100, v[69:72]
	v_mul_f16_e32 v63, 0x3b76, v63
	s_movk_i32 s22, 0x35c8
	v_fma_f16 v69, v53, s11, v61
	v_add_f16_sdwa v69, v37, v69 dst_sel:DWORD dst_unused:UNUSED_PAD src0_sel:WORD_1 src1_sel:DWORD
	v_fma_f16 v70, v54, s22, v63
	v_mul_f16_e32 v64, 0xbacd, v64
	s_mov_b32 s23, 0xb836
	v_add_f16_e32 v69, v70, v69
	v_fma_f16 v70, v55, s23, v64
	v_mul_f16_e32 v65, 0x39e9, v65
	v_add_f16_e32 v69, v70, v69
	v_fma_f16 v70, v56, s5, v65
	v_mul_f16_e32 v66, 0xb8d2, v66
	;; [unrolled: 3-line block ×3, first 2 shown]
	s_movk_i32 s5, 0x3b29
	v_add_f16_e32 v69, v70, v69
	v_fma_f16 v70, v58, s5, v67
	v_mul_f16_e32 v68, 0xb461, v68
	s_mov_b32 s23, 0xbbb2
	v_add_f16_e32 v69, v70, v69
	v_fma_f16 v70, v59, s23, v68
	v_add_f16_e32 v69, v70, v69
	s_movk_i32 s24, 0x3bf7
	v_mul_f16_e32 v70, 0x2de8, v60
	v_fma_f16 v71, v62, s24, v70
	v_add_f16_e32 v69, v71, v69
	v_fma_f16 v71, v50, s24, v81
	v_add_f16_sdwa v71, v37, v71 dst_sel:DWORD dst_unused:UNUSED_PAD src0_sel:WORD_1 src1_sel:DWORD
	v_fma_f16 v72, v52, s6, v82
	v_add_f16_e32 v71, v72, v71
	v_fma_f16 v72, v49, s23, v91
	v_add_f16_e32 v71, v72, v71
	;; [unrolled: 2-line block ×3, first 2 shown]
	v_fma_f16 v72, v44, s5, v92
	s_movk_i32 s6, 0x3836
	v_add_f16_e32 v71, v72, v71
	v_fma_f16 v72, v42, s6, v83
	v_add_f16_e32 v71, v72, v71
	v_fma_f16 v72, v78, s4, v73
	s_mov_b32 s4, 0xb964
	v_add_f16_e32 v71, v72, v71
	v_fma_f16 v72, v76, s4, v80
	v_add_f16_e32 v71, v72, v71
	v_fma_f16 v72, v53, s5, v84
	s_movk_i32 s5, 0x3a62
	v_fma_f16 v73, v54, s5, v85
	v_add_f16_sdwa v72, v37, v72 dst_sel:DWORD dst_unused:UNUSED_PAD src0_sel:WORD_1 src1_sel:DWORD
	v_add_f16_e32 v72, v73, v72
	v_mul_f16_e32 v73, 0xb836, v55
	v_fma_f16 v55, v55, s11, v86
	v_mul_f16_e32 v77, 0x3964, v56
	v_add_f16_e32 v55, v55, v72
	v_fma_f16 v56, v56, s23, v87
	v_mul_f16_e32 v53, 0xb1e1, v53
	v_mul_f16_e32 v72, 0xba62, v57
	v_add_f16_e32 v55, v56, v55
	v_fma_f16 v57, v57, s4, v88
	v_pk_mul_f16 v81, v50, s14
	v_mul_f16_e32 v54, 0x35c8, v54
	v_add_f16_e32 v55, v57, v55
	v_pk_mul_f16 v57, v52, s16
	v_bfi_b32 v61, s10, v61, v90
	v_bfi_b32 v53, s10, v53, v81
	s_mov_b32 s5, 0xbacd
	v_pk_add_f16 v53, v61, v53 neg_lo:[0,1] neg_hi:[0,1]
	v_bfi_b32 v61, s10, v63, v93
	v_bfi_b32 v54, s10, v54, v57
	v_pk_mul_f16 v82, v49, s15
	v_fma_f16 v60, v60, s5, -v75
	v_pk_add_f16 v53, v51, v53
	v_pk_add_f16 v54, v61, v54 neg_lo:[0,1] neg_hi:[0,1]
	s_mov_b32 s5, 0x3bb23a62
	v_mul_f16_e32 v80, 0x3b29, v58
	v_fma_f16 v58, v58, s22, v89
	v_pk_add_f16 v53, v54, v53
	v_bfi_b32 v54, s10, v64, v94
	v_bfi_b32 v57, s10, v73, v82
	s_mov_b32 s4, 0xb461b8d2
	v_pk_mul_f16 v50, v50, s5
	s_mov_b32 s5, 0xb836bbb2
	v_add_f16_e32 v55, v58, v55
	v_pk_mul_f16 v58, v46, s17
	v_pk_add_f16 v54, v54, v57 neg_lo:[0,1] neg_hi:[0,1]
	v_pk_fma_f16 v47, v47, s4, v50
	s_mov_b32 s4, 0xbacdb461
	v_pk_mul_f16 v50, v52, s5
	v_mul_f16_e32 v56, 0xbbb2, v59
	v_fma_f16 v59, v59, s24, v74
	v_pk_add_f16 v53, v54, v53
	v_bfi_b32 v54, s10, v65, v95
	v_bfi_b32 v57, s10, v77, v58
	v_pk_add_f16 v47, v51, v47
	v_pk_fma_f16 v48, v48, s4, v50
	s_mov_b32 s5, 0xb96435c8
	v_add_f16_e32 v55, v59, v55
	v_pk_mul_f16 v59, v44, s18
	v_pk_add_f16 v54, v54, v57 neg_lo:[0,1] neg_hi:[0,1]
	v_pk_add_f16 v47, v48, v47
	s_mov_b32 s4, 0x39e93b76
	v_pk_mul_f16 v48, v49, s5
	s_mov_b32 s5, 0x3b293836
	v_pk_add_f16 v53, v54, v53
	v_bfi_b32 v54, s10, v66, v96
	v_bfi_b32 v57, s10, v72, v59
	v_pk_fma_f16 v45, v45, s4, v48
	s_mov_b32 s4, 0x3722bacd
	v_pk_mul_f16 v46, v46, s5
	s_mov_b32 s5, 0x31e1bbf7
	v_add_f16_e32 v55, v60, v55
	v_pk_mul_f16 v60, v42, s19
	v_pk_add_f16 v54, v54, v57 neg_lo:[0,1] neg_hi:[0,1]
	v_pk_add_f16 v45, v45, v47
	v_pk_fma_f16 v43, v43, s4, v46
	s_mov_b32 s4, 0xbbdd2de8
	v_pk_mul_f16 v44, v44, s5
	s_mov_b32 s5, 0xbbf73964
	v_pk_add_f16 v53, v54, v53
	v_bfi_b32 v54, s10, v67, v97
	v_bfi_b32 v57, s10, v80, v60
	v_pk_add_f16 v43, v43, v45
	v_pk_fma_f16 v32, v32, s4, v44
	s_mov_b32 s4, 0x2de839e9
	v_pk_mul_f16 v42, v42, s5
	v_pk_mul_f16 v74, v78, s20
	v_pk_add_f16 v54, v54, v57 neg_lo:[0,1] neg_hi:[0,1]
	v_pk_add_f16 v32, v32, v43
	v_pk_fma_f16 v10, v10, s4, v42
	s_mov_b32 s5, 0x35c831e1
	v_pk_add_f16 v53, v54, v53
	v_bfi_b32 v54, s10, v68, v98
	v_bfi_b32 v56, s10, v56, v74
	v_pk_add_f16 v10, v10, v32
	s_mov_b32 s4, 0x3b76bbdd
	v_pk_mul_f16 v32, v78, s5
	v_mul_f16_e32 v62, 0x3bf7, v62
	v_pk_mul_f16 v75, v76, s21
	v_pk_add_f16 v54, v54, v56 neg_lo:[0,1] neg_hi:[0,1]
	v_pk_fma_f16 v1, v1, s4, v32
	s_mov_b32 s5, 0x3a62bb29
	v_pk_add_f16 v53, v54, v53
	v_bfi_b32 v54, s10, v70, v99
	v_bfi_b32 v56, s10, v62, v75
	v_pk_add_f16 v1, v1, v10
	s_mov_b32 s4, 0xb8d23722
	v_pk_mul_f16 v10, v76, s5
	v_pk_add_f16 v54, v54, v56 neg_lo:[0,1] neg_hi:[0,1]
	v_pk_fma_f16 v10, v79, s4, v10
	v_pk_add_f16 v53, v54, v53
	v_pk_add_f16 v1, v10, v1
	v_alignbit_b32 v43, v1, v53, 16
	v_pack_b32_f16 v42, v69, v53
	v_alignbit_b32 v44, v71, v1, 16
	ds_write_b96 v100, v[42:44] offset:16
	ds_write_b16 v100, v55 offset:28
	ds_write_b32 v100, v9 offset:30
.LBB0_14:
	s_or_b64 exec, exec, s[0:1]
	v_lshlrev_b32_e32 v1, 1, v7
	v_add3_u32 v10, 0, v8, v1
	v_add_u32_e32 v1, 0, v1
	s_waitcnt lgkmcnt(0)
	s_barrier
	v_add_u32_e32 v32, v1, v8
	ds_read_u16 v44, v10
	ds_read_u16 v43, v32 offset:170
	ds_read_u16 v50, v32 offset:714
	;; [unrolled: 1-line block ×14, first 2 shown]
	v_cmp_gt_u32_e64 s[0:1], 17, v7
                                        ; implicit-def: $vgpr45
                                        ; implicit-def: $vgpr51
                                        ; implicit-def: $vgpr54
	s_and_saveexec_b64 s[4:5], s[0:1]
	s_cbranch_execz .LBB0_16
; %bb.15:
	ds_read_u16 v9, v32 offset:510
	ds_read_u16 v60, v32 offset:1054
	;; [unrolled: 1-line block ×5, first 2 shown]
	s_mov_b32 s6, 0x5040100
	s_waitcnt lgkmcnt(3)
	v_perm_b32 v9, v60, v9, s6
.LBB0_16:
	s_or_b64 exec, exec, s[4:5]
	v_sub_f16_e32 v68, v3, v41
	s_mov_b32 s4, 0xb5c8b964
	v_add_f16_e32 v67, v2, v25
	v_sub_f16_e32 v65, v26, v40
	s_mov_b32 s7, 0x3b7639e9
	v_pk_mul_f16 v26, v68, s4 op_sel_hi:[0,1]
	s_mov_b32 s4, 0xb964bbf7
	v_add_f16_e32 v64, v11, v24
	v_sub_f16_e32 v63, v27, v39
	v_pk_fma_f16 v3, v67, s7, v26 op_sel_hi:[0,1,1]
	s_mov_b32 s6, 0x39e92de8
	v_pk_mul_f16 v27, v65, s4 op_sel_hi:[0,1]
	v_sub_f16_e32 v61, v28, v38
	v_pk_add_f16 v3, v0, v3 op_sel_hi:[0,1]
	v_pk_fma_f16 v28, v64, s6, v27 op_sel_hi:[0,1,1]
	s_mov_b32 s4, 0xbb29ba62
	v_add_f16_e32 v62, v12, v23
	v_pk_add_f16 v3, v28, v3
	s_mov_b32 s10, 0x3722b8d2
	v_pk_mul_f16 v28, v63, s4 op_sel_hi:[0,1]
	v_sub_f16_e32 v41, v29, v36
	v_pk_fma_f16 v29, v62, s10, v28 op_sel_hi:[0,1,1]
	s_mov_b32 s4, 0xbbf7b1e1
	v_add_f16_e32 v60, v13, v22
	v_pk_add_f16 v3, v29, v3
	s_mov_b32 s11, 0x2de8bbdd
	v_pk_mul_f16 v29, v61, s4 op_sel_hi:[0,1]
	v_sub_f16_e32 v39, v30, v35
	;; [unrolled: 7-line block ×4, first 2 shown]
	v_pk_fma_f16 v37, v38, s17, v34 op_sel_hi:[0,1,1]
	s_mov_b32 s4, 0xb8363b29
	v_add_f16_e32 v35, v16, v19
	v_pk_add_f16 v3, v37, v3
	s_mov_b32 s16, 0xbacd3722
	v_pk_mul_f16 v37, v36, s4 op_sel_hi:[0,1]
	v_pk_fma_f16 v66, v35, s16, v37 op_sel_hi:[0,1,1]
	s_mov_b32 s4, 0xb1e135c8
	v_add_f16_e32 v31, v17, v18
	v_pk_add_f16 v3, v66, v3
	s_mov_b32 s15, 0xbbdd3b76
	v_pk_mul_f16 v66, v33, s4 op_sel_hi:[0,1]
	v_pk_fma_f16 v69, v31, s15, v66 op_sel_hi:[0,1,1]
	v_pk_add_f16 v3, v69, v3
	s_waitcnt lgkmcnt(0)
	s_barrier
	s_and_saveexec_b64 s[4:5], s[2:3]
	s_cbranch_execz .LBB0_18
; %bb.17:
	v_pack_b32_f16 v69, v67, v67
	v_pk_mul_f16 v67, v67, s7 op_sel_hi:[0,1]
	s_mov_b32 s2, 0x5040100
	v_perm_b32 v70, v0, v0, s2
	v_pack_b32_f16 v71, v64, v64
	v_pk_mul_f16 v64, v64, s6 op_sel_hi:[0,1]
	v_add_f16_e32 v0, v0, v2
	v_pk_add_f16 v2, v67, v26 neg_lo:[0,1] neg_hi:[0,1]
	v_pack_b32_f16 v72, v62, v62
	v_pk_mul_f16 v62, v62, s10 op_sel_hi:[0,1]
	v_add_f16_e32 v0, v0, v11
	v_pk_add_f16 v2, v70, v2
	v_pk_add_f16 v11, v64, v27 neg_lo:[0,1] neg_hi:[0,1]
	v_pack_b32_f16 v73, v60, v60
	v_pk_mul_f16 v60, v60, s11 op_sel_hi:[0,1]
	v_pk_add_f16 v2, v11, v2
	v_pk_add_f16 v11, v62, v28 neg_lo:[0,1] neg_hi:[0,1]
	v_pack_b32_f16 v74, v40, v40
	v_pk_mul_f16 v40, v40, s14 op_sel_hi:[0,1]
	;; [unrolled: 4-line block ×5, first 2 shown]
	v_pk_add_f16 v2, v11, v2
	v_pk_add_f16 v11, v35, v37 neg_lo:[0,1] neg_hi:[0,1]
	v_pack_b32_f16 v68, v68, v68
	v_pk_add_f16 v2, v11, v2
	v_pk_add_f16 v11, v31, v66 neg_lo:[0,1] neg_hi:[0,1]
	s_mov_b32 s3, 0xbbf7bb29
	v_pack_b32_f16 v65, v65, v65
	v_add_f16_e32 v0, v0, v12
	v_pk_add_f16 v2, v11, v2
	s_mov_b32 s2, 0x2de83722
	v_pk_mul_f16 v11, v68, s3
	s_mov_b32 s18, 0xb1e1ba62
	v_add_f16_e32 v0, v0, v13
	v_pk_fma_f16 v12, v69, s2, v11 neg_lo:[0,0,1] neg_hi:[0,0,1]
	s_mov_b32 s3, 0xbbddb8d2
	v_pk_mul_f16 v13, v65, s18
	v_pack_b32_f16 v63, v63, v63
	v_add_f16_e32 v0, v0, v14
	v_pk_add_f16 v12, v70, v12
	v_pk_fma_f16 v14, v71, s3, v13 neg_lo:[0,0,1] neg_hi:[0,0,1]
	s_mov_b32 s19, 0x3bb231e1
	v_pk_add_f16 v12, v14, v12
	s_mov_b32 s18, 0xb461bbdd
	v_pk_mul_f16 v14, v63, s19
	v_pack_b32_f16 v61, v61, v61
	v_add_f16_e32 v0, v0, v15
	v_pk_fma_f16 v15, v72, s18, v14 neg_lo:[0,0,1] neg_hi:[0,0,1]
	s_mov_b32 s20, 0x35c83bb2
	v_pk_add_f16 v12, v15, v12
	s_mov_b32 s19, 0x3b76b461
	v_pk_mul_f16 v15, v61, s20
	v_pack_b32_f16 v41, v41, v41
	v_add_f16_e32 v0, v0, v16
	v_pk_fma_f16 v16, v73, s19, v15 neg_lo:[0,0,1] neg_hi:[0,0,1]
	s_mov_b32 s21, 0xbb293964
	v_pk_add_f16 v12, v16, v12
	s_mov_b32 s20, 0x372239e9
	v_pk_mul_f16 v16, v41, s21
	v_pk_fma_f16 v11, v69, s2, v11
	v_pack_b32_f16 v39, v39, v39
	v_add_f16_e32 v0, v0, v17
	v_pk_fma_f16 v17, v74, s20, v16 neg_lo:[0,0,1] neg_hi:[0,0,1]
	s_mov_b32 s22, 0xb836b5c8
	v_pk_add_f16 v11, v70, v11
	v_pk_fma_f16 v13, v71, s3, v13
	v_pk_add_f16 v12, v17, v12
	s_mov_b32 s21, 0xbacd3b76
	v_pk_mul_f16 v17, v39, s22
	v_pk_add_f16 v11, v13, v11
	v_pk_fma_f16 v13, v72, s18, v14
	v_pack_b32_f16 v36, v36, v36
	v_add_f16_e32 v0, v0, v18
	v_pk_fma_f16 v18, v75, s21, v17 neg_lo:[0,0,1] neg_hi:[0,0,1]
	s_mov_b32 s23, 0x3a62bbf7
	v_pk_add_f16 v11, v13, v11
	v_pk_fma_f16 v13, v73, s19, v15
	v_pk_add_f16 v12, v18, v12
	s_mov_b32 s22, 0xb8d22de8
	v_pk_mul_f16 v18, v36, s23
	v_pk_add_f16 v11, v13, v11
	;; [unrolled: 11-line block ×3, first 2 shown]
	v_pk_fma_f16 v13, v76, s22, v18
	v_pk_add_f16 v11, v13, v11
	v_pk_fma_f16 v13, v77, s23, v19
	s_mov_b32 s2, 0xba62bbb2
	v_pk_add_f16 v15, v13, v11
	v_pk_mul_f16 v11, v68, s2
	s_mov_b32 s2, 0x3bb23836
	v_pk_fma_f16 v13, v69, s17, v11 neg_lo:[0,0,1] neg_hi:[0,0,1]
	v_pk_mul_f16 v14, v65, s2
	v_pk_add_f16 v13, v70, v13
	v_pk_fma_f16 v16, v71, s14, v14 neg_lo:[0,0,1] neg_hi:[0,0,1]
	s_mov_b32 s2, 0xb5c83964
	v_pk_add_f16 v13, v16, v13
	v_pk_mul_f16 v16, v63, s2
	v_pk_fma_f16 v17, v72, s7, v16 neg_lo:[0,0,1] neg_hi:[0,0,1]
	s_mov_b32 s2, 0xb836bb29
	v_pk_add_f16 v13, v17, v13
	v_pk_mul_f16 v17, v61, s2
	;; [unrolled: 4-line block ×3, first 2 shown]
	v_pk_fma_f16 v11, v69, s17, v11
	v_add_f16_e32 v0, v0, v20
	v_pk_fma_f16 v20, v77, s23, v19 neg_lo:[0,0,1] neg_hi:[0,0,1]
	v_pk_fma_f16 v19, v74, s11, v18 neg_lo:[0,0,1] neg_hi:[0,0,1]
	s_mov_b32 s2, 0xb9643bf7
	v_pk_add_f16 v11, v70, v11
	v_pk_fma_f16 v14, v71, s14, v14
	v_pk_add_f16 v13, v19, v13
	v_pk_mul_f16 v19, v39, s2
	v_pk_add_f16 v11, v14, v11
	v_pk_fma_f16 v14, v72, s7, v16
	v_pk_add_f16 v12, v20, v12
	v_pk_fma_f16 v20, v75, s6, v19 neg_lo:[0,0,1] neg_hi:[0,0,1]
	s_mov_b32 s2, 0xb1e1b5c8
	v_pk_add_f16 v11, v14, v11
	v_pk_fma_f16 v14, v73, s16, v17
	v_pk_add_f16 v13, v20, v13
	v_pk_mul_f16 v20, v36, s2
	v_pk_add_f16 v11, v14, v11
	v_pk_fma_f16 v14, v74, s11, v18
	v_add_f16_e32 v0, v0, v21
	v_pk_fma_f16 v21, v76, s15, v20 neg_lo:[0,0,1] neg_hi:[0,0,1]
	s_mov_b32 s2, 0x3b29ba62
	v_pk_add_f16 v11, v14, v11
	v_pk_fma_f16 v14, v75, s6, v19
	v_pk_add_f16 v13, v21, v13
	v_pk_mul_f16 v21, v33, s2
	v_pk_add_f16 v11, v14, v11
	v_pk_fma_f16 v14, v76, s15, v20
	v_pk_add_f16 v11, v14, v11
	v_pk_fma_f16 v14, v77, s10, v21
	s_mov_b32 s3, 0xb1e1b836
	v_pk_add_f16 v16, v14, v11
	s_mov_b32 s2, 0xbbddbacd
	v_pk_mul_f16 v11, v68, s3
	s_mov_b32 s6, 0x35c83b29
	v_pk_fma_f16 v14, v69, s2, v11 neg_lo:[0,0,1] neg_hi:[0,0,1]
	s_mov_b32 s3, 0x3b763722
	v_pk_mul_f16 v17, v65, s6
	v_pk_add_f16 v14, v70, v14
	v_pk_fma_f16 v18, v71, s3, v17 neg_lo:[0,0,1] neg_hi:[0,0,1]
	s_mov_b32 s7, 0xb836bbf7
	v_pk_add_f16 v14, v18, v14
	s_mov_b32 s6, 0xbacd2de8
	v_pk_mul_f16 v18, v63, s7
	v_add_f16_e32 v0, v0, v22
	v_pk_fma_f16 v22, v77, s10, v21 neg_lo:[0,0,1] neg_hi:[0,0,1]
	v_pk_fma_f16 v19, v72, s6, v18 neg_lo:[0,0,1] neg_hi:[0,0,1]
	s_mov_b32 s10, 0x39643a62
	v_pk_add_f16 v14, v19, v14
	s_mov_b32 s7, 0x39e9b8d2
	v_pk_mul_f16 v19, v61, s10
	v_pk_fma_f16 v20, v73, s7, v19 neg_lo:[0,0,1] neg_hi:[0,0,1]
	s_mov_b32 s11, 0xba62b5c8
	v_pk_add_f16 v14, v20, v14
	s_mov_b32 s10, 0xb8d23b76
	v_pk_mul_f16 v20, v41, s11
	v_pk_fma_f16 v11, v69, s2, v11
	v_pk_fma_f16 v21, v74, s10, v20 neg_lo:[0,0,1] neg_hi:[0,0,1]
	s_mov_b32 s14, 0x3b29b1e1
	v_pk_add_f16 v11, v70, v11
	v_pk_fma_f16 v17, v71, s3, v17
	v_pk_add_f16 v14, v21, v14
	s_mov_b32 s11, 0x3722bbdd
	v_pk_mul_f16 v21, v39, s14
	v_pk_add_f16 v11, v17, v11
	v_pk_fma_f16 v17, v72, s6, v18
	v_pk_add_f16 v13, v22, v13
	v_pk_fma_f16 v22, v75, s11, v21 neg_lo:[0,0,1] neg_hi:[0,0,1]
	s_mov_b32 s15, 0xbbb23964
	v_pk_add_f16 v11, v17, v11
	v_pk_fma_f16 v17, v73, s7, v19
	v_pk_add_f16 v14, v22, v14
	s_mov_b32 s14, 0xb46139e9
	v_pk_mul_f16 v22, v36, s15
	v_pk_add_f16 v11, v17, v11
	v_pk_fma_f16 v17, v74, s10, v20
	v_add_f16_e32 v0, v0, v23
	v_pk_fma_f16 v23, v76, s14, v22 neg_lo:[0,0,1] neg_hi:[0,0,1]
	s_mov_b32 s16, 0x3bf7bbb2
	v_pk_add_f16 v11, v17, v11
	v_pk_fma_f16 v17, v75, s11, v21
	v_pk_add_f16 v14, v23, v14
	s_mov_b32 s15, 0x2de8b461
	v_pk_mul_f16 v23, v33, s16
	v_pk_add_f16 v11, v17, v11
	v_pk_fma_f16 v17, v76, s14, v22
	v_pk_add_f16 v11, v17, v11
	v_pk_fma_f16 v17, v77, s15, v23
	v_add_f16_e32 v0, v0, v24
	v_pk_add_f16 v17, v17, v11
	v_lshlrev_b32_e32 v11, 5, v7
	v_add_f16_e32 v0, v0, v25
	v_pk_fma_f16 v24, v77, s15, v23 neg_lo:[0,0,1] neg_hi:[0,0,1]
	v_add3_u32 v18, v1, v11, v8
	v_pk_add_f16 v14, v24, v14
	ds_write_b16 v18, v0
	v_alignbit_b32 v11, v2, v2, 16
	v_alignbit_b32 v0, v17, v17, 16
	;; [unrolled: 1-line block ×4, first 2 shown]
	ds_write_b128 v18, v[11:14] offset:2
	ds_write_b128 v18, v[0:3] offset:18
.LBB0_18:
	s_or_b64 exec, exec, s[4:5]
	s_waitcnt lgkmcnt(0)
	s_barrier
	ds_read_u16 v2, v10
	ds_read_u16 v1, v32 offset:170
	ds_read_u16 v16, v32 offset:714
	;; [unrolled: 1-line block ×14, first 2 shown]
                                        ; implicit-def: $vgpr14
                                        ; implicit-def: $vgpr20
                                        ; implicit-def: $vgpr40
	s_and_saveexec_b64 s[2:3], s[0:1]
	s_cbranch_execz .LBB0_20
; %bb.19:
	ds_read_u16 v3, v32 offset:510
	ds_read_u16 v25, v32 offset:1054
	;; [unrolled: 1-line block ×5, first 2 shown]
	s_mov_b32 s4, 0x5040100
	s_waitcnt lgkmcnt(3)
	v_perm_b32 v3, v25, v3, s4
.LBB0_20:
	s_or_b64 exec, exec, s[2:3]
	s_movk_i32 s2, 0xf1
	v_add_u16_e32 v30, 0x55, v7
	v_mul_lo_u16_sdwa v31, v30, s2 dst_sel:DWORD dst_unused:UNUSED_PAD src0_sel:BYTE_0 src1_sel:DWORD
	v_lshrrev_b16_e32 v74, 12, v31
	v_mul_lo_u16_e32 v31, 17, v74
	v_mov_b32_e32 v29, 4
	v_sub_u16_e32 v75, v30, v31
	v_lshlrev_b32_sdwa v30, v29, v75 dst_sel:DWORD dst_unused:UNUSED_PAD src0_sel:DWORD src1_sel:BYTE_0
	global_load_dwordx4 v[60:63], v30, s[8:9]
	v_add_u16_e32 v30, 0xaa, v7
	v_mul_lo_u16_sdwa v25, v7, s2 dst_sel:DWORD dst_unused:UNUSED_PAD src0_sel:BYTE_0 src1_sel:DWORD
	v_mul_lo_u16_sdwa v31, v30, s2 dst_sel:DWORD dst_unused:UNUSED_PAD src0_sel:BYTE_0 src1_sel:DWORD
	v_lshrrev_b16_e32 v72, 12, v25
	v_lshrrev_b16_e32 v76, 12, v31
	v_mul_lo_u16_e32 v25, 17, v72
	v_mul_lo_u16_e32 v31, 17, v76
	v_sub_u16_e32 v73, v7, v25
	v_sub_u16_e32 v77, v30, v31
	v_lshlrev_b32_sdwa v25, v29, v73 dst_sel:DWORD dst_unused:UNUSED_PAD src0_sel:DWORD src1_sel:BYTE_0
	v_lshlrev_b32_sdwa v29, v29, v77 dst_sel:DWORD dst_unused:UNUSED_PAD src0_sel:DWORD src1_sel:BYTE_0
	global_load_dwordx4 v[25:28], v25, s[8:9]
	s_mov_b32 s2, 0xf0f1
	global_load_dwordx4 v[64:67], v29, s[8:9]
	v_add_u32_e32 v29, 0xff, v7
	v_mul_u32_u24_sdwa v30, v29, s2 dst_sel:DWORD dst_unused:UNUSED_PAD src0_sel:WORD_0 src1_sel:DWORD
	v_lshrrev_b32_e32 v30, 20, v30
	v_mul_lo_u16_e32 v30, 17, v30
	v_sub_u16_e32 v78, v29, v30
	v_lshlrev_b32_e32 v29, 4, v78
	global_load_dwordx4 v[68:71], v29, s[8:9]
	s_mov_b32 s5, 0xbb9c
	s_movk_i32 s7, 0x3b9c
	s_mov_b32 s4, 0xb8b4
	s_movk_i32 s10, 0x38b4
	s_movk_i32 s6, 0x34f2
	;; [unrolled: 1-line block ×3, first 2 shown]
	v_lshrrev_b32_e32 v79, 16, v9
	v_lshrrev_b32_e32 v80, 16, v3
	s_waitcnt vmcnt(0) lgkmcnt(0)
	s_barrier
	v_mul_f16_sdwa v89, v53, v63 dst_sel:DWORD dst_unused:UNUSED_PAD src0_sel:DWORD src1_sel:WORD_1
	v_mul_f16_sdwa v86, v11, v62 dst_sel:DWORD dst_unused:UNUSED_PAD src0_sel:DWORD src1_sel:WORD_1
	;; [unrolled: 1-line block ×14, first 2 shown]
	v_fma_f16 v35, v22, v25, -v30
	v_fma_f16 v22, v13, v67, -v97
	v_mul_f16_sdwa v31, v21, v26 dst_sel:DWORD dst_unused:UNUSED_PAD src0_sel:DWORD src1_sel:WORD_1
	v_mul_f16_sdwa v13, v20, v70 dst_sel:DWORD dst_unused:UNUSED_PAD src0_sel:DWORD src1_sel:WORD_1
	;; [unrolled: 1-line block ×4, first 2 shown]
	v_fma_f16 v37, v21, v26, -v33
	v_fma_f16 v21, v17, v66, -v95
	v_fma_f16 v17, v51, v70, v13
	v_mul_f16_sdwa v13, v51, v70 dst_sel:DWORD dst_unused:UNUSED_PAD src0_sel:DWORD src1_sel:WORD_1
	v_mul_f16_sdwa v39, v23, v28 dst_sel:DWORD dst_unused:UNUSED_PAD src0_sel:DWORD src1_sel:WORD_1
	;; [unrolled: 1-line block ×5, first 2 shown]
	v_fma_f16 v41, v57, v25, v29
	v_fma_f16 v56, v56, v26, v31
	;; [unrolled: 1-line block ×3, first 2 shown]
	v_fma_f16 v13, v20, v70, -v13
	v_mul_f16_sdwa v20, v14, v71 dst_sel:DWORD dst_unused:UNUSED_PAD src0_sel:DWORD src1_sel:WORD_1
	v_mul_f16_sdwa v36, v59, v27 dst_sel:DWORD dst_unused:UNUSED_PAD src0_sel:DWORD src1_sel:WORD_1
	;; [unrolled: 1-line block ×4, first 2 shown]
	v_fma_f16 v58, v58, v28, v39
	v_fma_f16 v39, v23, v28, -v81
	v_fma_f16 v30, v18, v63, -v89
	;; [unrolled: 1-line block ×4, first 2 shown]
	v_fma_f16 v20, v45, v71, v20
	v_mul_f16_sdwa v40, v45, v71 dst_sel:DWORD dst_unused:UNUSED_PAD src0_sel:DWORD src1_sel:WORD_1
	v_add_f16_e32 v45, v56, v57
	v_fma_f16 v38, v24, v27, -v36
	v_fma_f16 v34, v46, v62, v86
	v_fma_f16 v45, v45, -0.5, v44
	v_sub_f16_e32 v46, v35, v39
	v_fma_f16 v31, v50, v60, v82
	v_fma_f16 v33, v49, v61, v84
	;; [unrolled: 1-line block ×5, first 2 shown]
	v_sub_f16_e32 v48, v37, v38
	v_sub_f16_e32 v49, v41, v56
	;; [unrolled: 1-line block ×3, first 2 shown]
	v_fma_f16 v45, v46, s7, v45
	v_fma_f16 v47, v48, s4, v47
	v_add_f16_e32 v49, v49, v50
	v_fma_f16 v45, v48, s10, v45
	v_fma_f16 v47, v49, s6, v47
	;; [unrolled: 1-line block ×3, first 2 shown]
	v_add_f16_e32 v49, v41, v58
	v_fma_f16 v14, v14, v71, -v40
	v_add_f16_e32 v40, v44, v41
	v_fma_f16 v44, v49, -0.5, v44
	v_fma_f16 v49, v48, s7, v44
	v_sub_f16_e32 v50, v56, v41
	v_sub_f16_e32 v51, v57, v58
	v_fma_f16 v44, v48, s5, v44
	v_fma_f16 v26, v16, v60, -v83
	v_fma_f16 v49, v46, s4, v49
	v_add_f16_e32 v50, v50, v51
	v_fma_f16 v44, v46, s10, v44
	v_add_f16_e32 v48, v33, v34
	v_fma_f16 v28, v15, v61, -v85
	v_fma_f16 v29, v11, v62, -v87
	v_fma_f16 v36, v53, v63, v88
	v_fma_f16 v49, v50, s6, v49
	;; [unrolled: 1-line block ×3, first 2 shown]
	v_fma_f16 v48, v48, -0.5, v43
	v_sub_f16_e32 v50, v26, v30
	v_fma_f16 v25, v52, v66, v94
	v_fma_f16 v15, v54, v69, v100
	;; [unrolled: 1-line block ×3, first 2 shown]
	v_sub_f16_e32 v52, v28, v29
	v_sub_f16_e32 v53, v31, v33
	;; [unrolled: 1-line block ×3, first 2 shown]
	v_fma_f16 v48, v50, s7, v48
	v_fma_f16 v51, v52, s4, v51
	v_add_f16_e32 v53, v53, v54
	v_fma_f16 v48, v52, s10, v48
	v_fma_f16 v51, v53, s6, v51
	v_fma_f16 v48, v53, s6, v48
	v_add_f16_e32 v53, v31, v36
	v_mul_f16_sdwa v92, v19, v65 dst_sel:DWORD dst_unused:UNUSED_PAD src0_sel:DWORD src1_sel:WORD_1
	v_add_f16_e32 v46, v43, v31
	v_fma_f16 v43, v53, -0.5, v43
	v_mul_f16_sdwa v93, v55, v65 dst_sel:DWORD dst_unused:UNUSED_PAD src0_sel:DWORD src1_sel:WORD_1
	v_fma_f16 v24, v55, v65, v92
	v_fma_f16 v53, v52, s7, v43
	v_sub_f16_e32 v54, v33, v31
	v_sub_f16_e32 v55, v34, v36
	v_fma_f16 v43, v52, s5, v43
	v_add_f16_e32 v54, v54, v55
	v_fma_f16 v43, v50, s10, v43
	v_fma_f16 v53, v50, s4, v53
	;; [unrolled: 1-line block ×3, first 2 shown]
	v_add_f16_e32 v43, v42, v23
	v_add_f16_e32 v43, v43, v24
	;; [unrolled: 1-line block ×5, first 2 shown]
	v_fma_f16 v19, v19, v65, -v93
	v_fma_f16 v53, v54, s6, v53
	v_fma_f16 v43, v43, -0.5, v42
	v_sub_f16_e32 v54, v18, v22
	v_fma_f16 v55, v54, s5, v43
	v_sub_f16_e32 v59, v19, v21
	v_sub_f16_e32 v60, v23, v24
	;; [unrolled: 1-line block ×3, first 2 shown]
	v_fma_f16 v43, v54, s7, v43
	v_fma_f16 v55, v59, s4, v55
	v_add_f16_e32 v60, v60, v61
	v_fma_f16 v43, v59, s10, v43
	v_fma_f16 v55, v60, s6, v55
	;; [unrolled: 1-line block ×3, first 2 shown]
	v_add_f16_e32 v43, v23, v27
	v_fma_f16 v42, v43, -0.5, v42
	v_fma_f16 v43, v59, s7, v42
	v_sub_f16_e32 v61, v24, v23
	v_sub_f16_e32 v62, v25, v27
	v_fma_f16 v42, v59, s5, v42
	v_add_f16_e32 v40, v40, v56
	v_fma_f16 v43, v54, s4, v43
	v_add_f16_e32 v61, v61, v62
	v_fma_f16 v42, v54, s10, v42
	v_mov_b32_e32 v59, 1
	v_add_f16_e32 v40, v40, v57
	v_fma_f16 v62, v61, s6, v43
	v_fma_f16 v54, v61, s6, v42
	v_mad_u32_u24 v42, v72, s2, 0
	v_lshlrev_b32_sdwa v43, v59, v73 dst_sel:DWORD dst_unused:UNUSED_PAD src0_sel:DWORD src1_sel:BYTE_0
	v_add_f16_e32 v40, v40, v58
	v_add3_u32 v42, v42, v43, v8
	v_add_f16_e32 v46, v46, v33
	ds_write_b16 v42, v40
	ds_write_b16 v42, v47 offset:34
	ds_write_b16 v42, v49 offset:68
	;; [unrolled: 1-line block ×4, first 2 shown]
	v_mad_u32_u24 v40, v74, s2, 0
	v_lshlrev_b32_sdwa v43, v59, v75 dst_sel:DWORD dst_unused:UNUSED_PAD src0_sel:DWORD src1_sel:BYTE_0
	v_mul_f16_sdwa v98, v80, v68 dst_sel:DWORD dst_unused:UNUSED_PAD src0_sel:DWORD src1_sel:WORD_1
	v_mul_f16_sdwa v99, v79, v68 dst_sel:DWORD dst_unused:UNUSED_PAD src0_sel:DWORD src1_sel:WORD_1
	v_add_f16_e32 v46, v46, v34
	v_add3_u32 v43, v40, v43, v8
	v_mad_u32_u24 v40, v76, s2, 0
	v_lshlrev_b32_sdwa v44, v59, v77 dst_sel:DWORD dst_unused:UNUSED_PAD src0_sel:DWORD src1_sel:BYTE_0
	v_fma_f16 v16, v79, v68, v98
	v_fma_f16 v11, v80, v68, -v99
	v_add_f16_e32 v46, v46, v36
	v_add3_u32 v44, v40, v44, v8
	v_lshlrev_b32_e32 v40, 1, v78
	ds_write_b16 v43, v46
	ds_write_b16 v43, v51 offset:34
	ds_write_b16 v43, v53 offset:68
	;; [unrolled: 1-line block ×4, first 2 shown]
	ds_write_b16 v44, v52
	ds_write_b16 v44, v55 offset:34
	ds_write_b16 v44, v62 offset:68
	ds_write_b16 v44, v54 offset:102
	ds_write_b16 v44, v60 offset:136
	s_and_saveexec_b64 s[2:3], s[0:1]
	s_cbranch_execz .LBB0_22
; %bb.21:
	v_add_f16_e32 v47, v16, v20
	v_sub_f16_e32 v45, v15, v16
	v_sub_f16_e32 v46, v17, v20
	v_fma_f16 v47, v47, -0.5, v9
	v_sub_f16_e32 v48, v12, v13
	v_add_f16_e32 v45, v45, v46
	v_sub_f16_e32 v46, v11, v14
	v_fma_f16 v49, v48, s5, v47
	v_fma_f16 v47, v48, s7, v47
	;; [unrolled: 1-line block ×6, first 2 shown]
	v_sub_f16_e32 v47, v16, v15
	v_sub_f16_e32 v50, v20, v17
	v_add_f16_e32 v47, v47, v50
	v_add_f16_e32 v50, v15, v17
	v_fma_f16 v50, v50, -0.5, v9
	v_add_f16_e32 v9, v9, v16
	v_fma_f16 v51, v46, s7, v50
	v_fma_f16 v46, v46, s5, v50
	v_add_f16_e32 v9, v9, v15
	v_fma_f16 v51, v48, s10, v51
	v_fma_f16 v46, v48, s4, v46
	;; [unrolled: 3-line block ×3, first 2 shown]
	v_add_f16_e32 v9, v9, v20
	v_add3_u32 v47, 0, v40, v8
	ds_write_b16 v47, v9 offset:2550
	ds_write_b16 v47, v46 offset:2584
	;; [unrolled: 1-line block ×5, first 2 shown]
.LBB0_22:
	s_or_b64 exec, exec, s[2:3]
	v_add_f16_e32 v9, v2, v35
	v_add_f16_e32 v9, v9, v37
	;; [unrolled: 1-line block ×5, first 2 shown]
	v_fma_f16 v9, v9, -0.5, v2
	v_sub_f16_e32 v41, v41, v58
	v_fma_f16 v46, v41, s7, v9
	v_sub_f16_e32 v47, v56, v57
	v_sub_f16_e32 v48, v35, v37
	;; [unrolled: 1-line block ×3, first 2 shown]
	v_fma_f16 v9, v41, s5, v9
	v_fma_f16 v46, v47, s10, v46
	v_add_f16_e32 v48, v48, v49
	v_fma_f16 v9, v47, s4, v9
	v_fma_f16 v46, v48, s6, v46
	;; [unrolled: 1-line block ×3, first 2 shown]
	v_add_f16_e32 v9, v35, v39
	v_fma_f16 v2, v9, -0.5, v2
	v_fma_f16 v9, v47, s5, v2
	v_sub_f16_e32 v35, v37, v35
	v_sub_f16_e32 v37, v38, v39
	v_fma_f16 v2, v47, s7, v2
	v_fma_f16 v9, v41, s10, v9
	v_add_f16_e32 v35, v35, v37
	v_fma_f16 v2, v41, s4, v2
	v_fma_f16 v37, v35, s6, v9
	v_fma_f16 v35, v35, s6, v2
	v_add_f16_e32 v2, v1, v26
	v_add_f16_e32 v2, v2, v28
	;; [unrolled: 1-line block ×5, first 2 shown]
	v_fma_f16 v2, v2, -0.5, v1
	v_sub_f16_e32 v9, v31, v36
	v_fma_f16 v31, v9, s7, v2
	v_sub_f16_e32 v33, v33, v34
	v_sub_f16_e32 v34, v26, v28
	;; [unrolled: 1-line block ×3, first 2 shown]
	v_fma_f16 v2, v9, s5, v2
	v_fma_f16 v31, v33, s10, v31
	v_add_f16_e32 v34, v34, v36
	v_fma_f16 v2, v33, s4, v2
	v_fma_f16 v31, v34, s6, v31
	;; [unrolled: 1-line block ×3, first 2 shown]
	v_add_f16_e32 v2, v26, v30
	v_fma_f16 v1, v2, -0.5, v1
	v_fma_f16 v2, v33, s5, v1
	v_sub_f16_e32 v26, v28, v26
	v_sub_f16_e32 v28, v29, v30
	v_fma_f16 v1, v33, s7, v1
	v_add_f16_e32 v26, v26, v28
	v_fma_f16 v1, v9, s4, v1
	v_fma_f16 v33, v26, s6, v1
	v_add_f16_e32 v1, v0, v18
	v_add_f16_e32 v1, v1, v19
	;; [unrolled: 1-line block ×3, first 2 shown]
	v_fma_f16 v2, v9, s10, v2
	v_add_f16_e32 v39, v1, v22
	v_add_f16_e32 v1, v19, v21
	v_fma_f16 v36, v26, s6, v2
	v_fma_f16 v1, v1, -0.5, v0
	v_sub_f16_e32 v2, v23, v27
	v_fma_f16 v9, v2, s7, v1
	v_sub_f16_e32 v23, v24, v25
	v_sub_f16_e32 v24, v18, v19
	;; [unrolled: 1-line block ×3, first 2 shown]
	v_fma_f16 v1, v2, s5, v1
	v_add_f16_e32 v24, v24, v25
	v_fma_f16 v1, v23, s4, v1
	v_fma_f16 v47, v24, s6, v1
	v_add_f16_e32 v1, v18, v22
	v_fma_f16 v9, v23, s10, v9
	v_fma_f16 v0, v1, -0.5, v0
	v_fma_f16 v41, v24, s6, v9
	v_fma_f16 v1, v23, s5, v0
	v_sub_f16_e32 v9, v19, v18
	v_sub_f16_e32 v18, v21, v22
	v_fma_f16 v0, v23, s7, v0
	v_fma_f16 v1, v2, s10, v1
	v_add_f16_e32 v9, v9, v18
	v_fma_f16 v0, v2, s4, v0
	v_fma_f16 v49, v9, s6, v1
	;; [unrolled: 1-line block ×3, first 2 shown]
	s_waitcnt lgkmcnt(0)
	s_barrier
	ds_read_u16 v0, v10
	ds_read_u16 v18, v32 offset:170
	ds_read_u16 v26, v32 offset:340
	;; [unrolled: 1-line block ×15, first 2 shown]
	s_waitcnt lgkmcnt(0)
	s_barrier
	ds_write_b16 v42, v45
	ds_write_b16 v42, v46 offset:34
	ds_write_b16 v42, v37 offset:68
	ds_write_b16 v42, v35 offset:102
	ds_write_b16 v42, v48 offset:136
	ds_write_b16 v43, v38
	ds_write_b16 v43, v31 offset:34
	ds_write_b16 v43, v36 offset:68
	ds_write_b16 v43, v33 offset:102
	ds_write_b16 v43, v34 offset:136
	;; [unrolled: 5-line block ×3, first 2 shown]
	s_and_saveexec_b64 s[2:3], s[0:1]
	s_cbranch_execz .LBB0_24
; %bb.23:
	v_add_f16_e32 v33, v12, v13
	v_fma_f16 v33, v33, -0.5, v3
	v_sub_f16_e32 v16, v16, v20
	s_movk_i32 s0, 0x3b9c
	v_fma_f16 v20, v16, s0, v33
	v_sub_f16_e32 v15, v15, v17
	s_movk_i32 s1, 0x38b4
	v_fma_f16 v17, v15, s1, v20
	v_sub_f16_e32 v20, v11, v12
	v_sub_f16_e32 v34, v14, v13
	v_fma_f16 v33, v16, s5, v33
	s_mov_b32 s6, 0xb8b4
	v_add_f16_e32 v20, v20, v34
	s_movk_i32 s4, 0x34f2
	v_fma_f16 v33, v15, s6, v33
	v_add_f16_e32 v31, v3, v11
	v_fma_f16 v17, v20, s4, v17
	v_fma_f16 v20, v20, s4, v33
	v_add_f16_e32 v33, v11, v14
	v_add_f16_e32 v31, v31, v12
	v_fma_f16 v3, v33, -0.5, v3
	v_add_f16_e32 v31, v31, v13
	v_fma_f16 v33, v15, s5, v3
	v_sub_f16_e32 v11, v12, v11
	v_sub_f16_e32 v12, v13, v14
	v_fma_f16 v3, v15, s0, v3
	v_add_f16_e32 v31, v31, v14
	v_fma_f16 v33, v16, s1, v33
	v_add_f16_e32 v11, v11, v12
	v_fma_f16 v3, v16, s6, v3
	v_add3_u32 v8, 0, v40, v8
	v_fma_f16 v12, v11, s4, v33
	v_fma_f16 v3, v11, s4, v3
	ds_write_b16 v8, v31 offset:2550
	ds_write_b16 v8, v17 offset:2584
	;; [unrolled: 1-line block ×5, first 2 shown]
.LBB0_24:
	s_or_b64 exec, exec, s[2:3]
	s_waitcnt lgkmcnt(0)
	s_barrier
	s_and_saveexec_b64 s[0:1], vcc
	s_cbranch_execz .LBB0_26
; %bb.25:
	v_mul_u32_u24_e32 v3, 15, v7
	v_lshlrev_b32_e32 v3, 2, v3
	global_load_dwordx4 v[11:14], v3, s[8:9] offset:272
	global_load_dwordx4 v[33:36], v3, s[8:9] offset:304
	;; [unrolled: 1-line block ×3, first 2 shown]
	global_load_dwordx3 v[15:17], v3, s[8:9] offset:320
	ds_read_u16 v3, v32 offset:2550
	ds_read_u16 v7, v32 offset:2380
	ds_read_u16 v8, v32 offset:2210
	ds_read_u16 v20, v32 offset:2040
	ds_read_u16 v31, v32 offset:1870
	ds_read_u16 v41, v32 offset:1700
	ds_read_u16 v42, v32 offset:1530
	ds_read_u16 v43, v32 offset:1360
	ds_read_u16 v44, v32 offset:1190
	ds_read_u16 v45, v32 offset:1020
	ds_read_u16 v46, v32 offset:850
	ds_read_u16 v47, v32 offset:680
	ds_read_u16 v48, v32 offset:510
	ds_read_u16 v49, v32 offset:340
	ds_read_u16 v32, v32 offset:170
	ds_read_u16 v10, v10
	s_movk_i32 s0, 0x39a8
	s_mov_b32 s1, 0xb9a8
	s_mov_b32 s2, 0xb61f
	;; [unrolled: 1-line block ×3, first 2 shown]
	s_movk_i32 s3, 0x3b64
	s_movk_i32 s5, 0x361f
	s_waitcnt vmcnt(3)
	v_mul_f16_sdwa v50, v18, v11 dst_sel:DWORD dst_unused:UNUSED_PAD src0_sel:DWORD src1_sel:WORD_1
	s_waitcnt lgkmcnt(1)
	v_fma_f16 v50, v32, v11, -v50
	v_mul_f16_sdwa v32, v32, v11 dst_sel:DWORD dst_unused:UNUSED_PAD src0_sel:DWORD src1_sel:WORD_1
	s_waitcnt vmcnt(2)
	v_mul_f16_sdwa v51, v21, v33 dst_sel:DWORD dst_unused:UNUSED_PAD src0_sel:DWORD src1_sel:WORD_1
	v_fma_f16 v11, v18, v11, v32
	v_mul_f16_sdwa v18, v42, v33 dst_sel:DWORD dst_unused:UNUSED_PAD src0_sel:DWORD src1_sel:WORD_1
	s_waitcnt vmcnt(1)
	v_lshrrev_b32_e32 v55, 16, v40
	v_mul_f16_sdwa v61, v27, v13 dst_sel:DWORD dst_unused:UNUSED_PAD src0_sel:DWORD src1_sel:WORD_1
	v_mul_f16_sdwa v62, v29, v35 dst_sel:DWORD dst_unused:UNUSED_PAD src0_sel:DWORD src1_sel:WORD_1
	;; [unrolled: 1-line block ×5, first 2 shown]
	v_fma_f16 v51, v42, v33, -v51
	v_fma_f16 v18, v21, v33, v18
	v_mul_f16_sdwa v33, v47, v14 dst_sel:DWORD dst_unused:UNUSED_PAD src0_sel:DWORD src1_sel:WORD_1
	v_lshrrev_b32_e32 v52, 16, v37
	v_lshrrev_b32_e32 v53, 16, v38
	;; [unrolled: 1-line block ×3, first 2 shown]
	v_mul_f16_e32 v56, v19, v37
	s_waitcnt vmcnt(0)
	v_lshrrev_b32_e32 v57, 16, v15
	v_lshrrev_b32_e32 v58, 16, v16
	;; [unrolled: 1-line block ×3, first 2 shown]
	v_mul_f16_e32 v60, v22, v15
	v_mul_f16_e32 v63, v28, v39
	;; [unrolled: 1-line block ×4, first 2 shown]
	v_mul_f16_sdwa v70, v26, v12 dst_sel:DWORD dst_unused:UNUSED_PAD src0_sel:DWORD src1_sel:WORD_1
	v_mul_f16_sdwa v71, v24, v34 dst_sel:DWORD dst_unused:UNUSED_PAD src0_sel:DWORD src1_sel:WORD_1
	v_mul_f16_e32 v72, v23, v38
	v_mul_f16_e32 v73, v25, v16
	v_fma_f16 v48, v48, v13, -v61
	v_fma_f16 v31, v31, v35, -v62
	v_fma_f16 v13, v27, v13, v65
	v_fma_f16 v27, v29, v35, v66
	v_fma_f16 v35, v47, v14, -v68
	v_mul_f16_e32 v9, v9, v55
	v_fma_f16 v1, v1, v14, v33
	v_mul_f16_sdwa v14, v20, v36 dst_sel:DWORD dst_unused:UNUSED_PAD src0_sel:DWORD src1_sel:WORD_1
	v_mul_f16_sdwa v69, v2, v36 dst_sel:DWORD dst_unused:UNUSED_PAD src0_sel:DWORD src1_sel:WORD_1
	;; [unrolled: 1-line block ×3, first 2 shown]
	v_fma_f16 v56, v46, v52, v56
	v_fma_f16 v60, v8, v57, v60
	;; [unrolled: 1-line block ×4, first 2 shown]
	v_mul_f16_e32 v28, v28, v54
	v_mul_f16_e32 v29, v30, v59
	v_fma_f16 v30, v43, v55, v67
	v_fma_f16 v49, v49, v12, -v70
	v_fma_f16 v59, v41, v34, -v71
	v_fma_f16 v63, v45, v53, v72
	v_fma_f16 v64, v7, v58, v73
	v_mul_f16_sdwa v41, v41, v34 dst_sel:DWORD dst_unused:UNUSED_PAD src0_sel:DWORD src1_sel:WORD_1
	v_mul_f16_e32 v23, v23, v53
	v_mul_f16_e32 v25, v25, v58
	;; [unrolled: 1-line block ×4, first 2 shown]
	v_fma_f16 v9, v43, v40, -v9
	v_fma_f16 v2, v2, v36, v14
	v_fma_f16 v54, v20, v36, -v69
	v_fma_f16 v12, v26, v12, v74
	v_sub_f16_e32 v26, v50, v51
	v_sub_f16_e32 v51, v56, v60
	;; [unrolled: 1-line block ×4, first 2 shown]
	v_fma_f16 v28, v44, v39, -v28
	v_fma_f16 v3, v3, v17, -v29
	v_sub_f16_e32 v17, v0, v30
	v_sub_f16_e32 v30, v49, v59
	;; [unrolled: 1-line block ×3, first 2 shown]
	v_fma_f16 v24, v24, v34, v41
	v_fma_f16 v23, v45, v38, -v23
	v_fma_f16 v7, v7, v16, -v25
	;; [unrolled: 1-line block ×4, first 2 shown]
	s_waitcnt lgkmcnt(0)
	v_sub_f16_e32 v9, v10, v9
	v_sub_f16_e32 v2, v1, v2
	;; [unrolled: 1-line block ×13, first 2 shown]
	v_add_f16_e32 v59, v17, v29
	v_fma_f16 v64, v54, s0, v44
	v_add_f16_e32 v65, v27, v3
	v_add_f16_e32 v16, v24, v7
	;; [unrolled: 1-line block ×3, first 2 shown]
	v_fma_f16 v20, v62, s0, v14
	v_fma_f16 v64, v65, s1, v64
	;; [unrolled: 1-line block ×5, first 2 shown]
	v_fma_f16 v66, v44, 2.0, -v64
	v_fma_f16 v25, v62, s0, v25
	v_fma_f16 v21, v54, s0, v21
	v_fma_f16 v33, v14, 2.0, -v20
	v_fma_f16 v34, v59, 2.0, -v25
	;; [unrolled: 1-line block ×3, first 2 shown]
	v_fma_f16 v36, v66, s2, v33
	v_fma_f16 v15, v18, 2.0, -v15
	v_fma_f16 v0, v0, 2.0, -v17
	;; [unrolled: 1-line block ×9, first 2 shown]
	v_fma_f16 v32, v22, s2, v34
	v_fma_f16 v22, v22, s4, v36
	v_fma_f16 v36, v26, 2.0, -v44
	v_fma_f16 v16, v24, 2.0, -v16
	;; [unrolled: 1-line block ×7, first 2 shown]
	v_sub_f16_e32 v1, v0, v1
	v_sub_f16_e32 v7, v2, v7
	v_sub_f16_e32 v18, v11, v18
	v_sub_f16_e32 v3, v23, v3
	v_fma_f16 v9, v10, 2.0, -v9
	v_fma_f16 v10, v35, 2.0, -v29
	;; [unrolled: 1-line block ×5, first 2 shown]
	v_sub_f16_e32 v8, v26, v8
	v_sub_f16_e32 v19, v13, v19
	v_add_f16_e32 v17, v1, v7
	v_add_f16_e32 v28, v18, v3
	v_sub_f16_e32 v10, v9, v10
	v_sub_f16_e32 v24, v12, v24
	v_fma_f16 v40, v27, 2.0, -v65
	v_fma_f16 v41, v30, 2.0, -v62
	v_fma_f16 v45, v64, s3, v20
	v_sub_f16_e32 v27, v8, v19
	v_fma_f16 v30, v28, s0, v17
	v_sub_f16_e32 v29, v10, v24
	v_fma_f16 v37, v31, 2.0, -v54
	v_fma_f16 v43, v16, s1, v42
	v_fma_f16 v44, v21, s3, v25
	;; [unrolled: 1-line block ×5, first 2 shown]
	v_fma_f16 v27, v8, 2.0, -v27
	v_fma_f16 v45, v1, 2.0, -v17
	;; [unrolled: 1-line block ×6, first 2 shown]
	v_fma_f16 v38, v37, s1, v36
	v_fma_f16 v43, v41, s0, v43
	;; [unrolled: 1-line block ×3, first 2 shown]
	v_fma_f16 v47, v10, 2.0, -v29
	v_sub_f16_e32 v1, v0, v1
	v_sub_f16_e32 v3, v8, v3
	v_fma_f16 v9, v9, 2.0, -v10
	v_fma_f16 v2, v2, 2.0, -v7
	v_fma_f16 v7, v11, 2.0, -v18
	v_fma_f16 v10, v13, 2.0, -v19
	v_fma_f16 v38, v40, s1, v38
	v_fma_f16 v40, v40, s1, v15
	v_fma_f16 v16, v16, s1, v41
	v_add_f16_e32 v12, v3, v1
	v_sub_f16_e32 v2, v9, v2
	v_sub_f16_e32 v10, v7, v10
	v_fma_f16 v37, v37, s0, v40
	v_fma_f16 v41, v38, s5, v16
	;; [unrolled: 1-line block ×3, first 2 shown]
	v_fma_f16 v28, v18, 2.0, -v28
	v_sub_f16_e32 v11, v2, v10
	v_fma_f16 v19, v1, 2.0, -v12
	v_fma_f16 v0, v0, 2.0, -v1
	;; [unrolled: 1-line block ×3, first 2 shown]
	v_fma_f16 v41, v37, s4, v41
	v_fma_f16 v46, v28, s1, v45
	v_fma_f16 v23, v2, 2.0, -v11
	v_fma_f16 v26, v36, 2.0, -v38
	;; [unrolled: 1-line block ×3, first 2 shown]
	v_sub_f16_e32 v10, v0, v1
	v_fma_f16 v1, v9, 2.0, -v2
	v_fma_f16 v2, v8, 2.0, -v3
	v_fma_f16 v32, v66, s3, v32
	v_fma_f16 v39, v16, 2.0, -v41
	v_fma_f16 v46, v27, s0, v46
	v_fma_f16 v27, v27, s1, v47
	v_fma_f16 v24, v42, 2.0, -v43
	v_fma_f16 v15, v15, 2.0, -v37
	v_fma_f16 v16, v26, s4, v14
	v_sub_f16_e32 v2, v1, v2
	v_fma_f16 v27, v28, s1, v27
	v_fma_f16 v28, v34, 2.0, -v32
	v_fma_f16 v34, v15, s4, v24
	v_fma_f16 v15, v15, s2, v16
	v_fma_f16 v9, v0, 2.0, -v10
	v_fma_f16 v16, v1, 2.0, -v2
	v_lshlrev_b64 v[0:1], 2, v[4:5]
	v_mov_b32_e32 v7, 0
	v_mov_b32_e32 v4, s13
	v_add_co_u32_e32 v5, vcc, s12, v0
	v_addc_co_u32_e32 v4, vcc, v4, v1, vcc
	v_lshlrev_b64 v[0:1], 2, v[6:7]
	v_fma_f16 v34, v26, s5, v34
	v_add_co_u32_e32 v0, vcc, v5, v0
	v_fma_f16 v24, v24, 2.0, -v34
	v_fma_f16 v14, v14, 2.0, -v15
	v_addc_co_u32_e32 v1, vcc, v4, v1, vcc
	v_pack_b32_f16 v4, v9, v16
	v_fma_f16 v13, v45, 2.0, -v46
	v_fma_f16 v18, v47, 2.0, -v27
	global_store_dword v[0:1], v4, off
	v_pack_b32_f16 v4, v24, v14
	v_pack_b32_f16 v2, v10, v2
	v_fma_f16 v40, v37, s5, v43
	v_fma_f16 v33, v33, 2.0, -v22
	global_store_dword v[0:1], v4, off offset:340
	v_pack_b32_f16 v4, v13, v18
	global_store_dword v[0:1], v2, off offset:2720
	v_pack_b32_f16 v2, v34, v15
	v_fma_f16 v40, v38, s3, v40
	v_fma_f16 v44, v64, s5, v44
	v_fma_f16 v3, v17, 2.0, -v30
	v_fma_f16 v8, v29, 2.0, -v31
	global_store_dword v[0:1], v4, off offset:680
	v_pack_b32_f16 v4, v28, v33
	global_store_dword v[0:1], v2, off offset:3060
	v_pack_b32_f16 v2, v46, v27
	v_fma_f16 v25, v25, 2.0, -v44
	v_fma_f16 v20, v20, 2.0, -v21
	;; [unrolled: 1-line block ×3, first 2 shown]
	global_store_dword v[0:1], v4, off offset:1020
	v_pack_b32_f16 v4, v19, v23
	v_pack_b32_f16 v3, v3, v8
	global_store_dword v[0:1], v2, off offset:3400
	v_pack_b32_f16 v2, v32, v22
	global_store_dword v[0:1], v4, off offset:1360
	;; [unrolled: 2-line block ×5, first 2 shown]
	global_store_dword v[0:1], v3, off offset:2380
	global_store_dword v[0:1], v2, off offset:4080
	v_add_co_u32_e32 v0, vcc, 0x1000, v0
	v_pack_b32_f16 v2, v40, v41
	v_addc_co_u32_e32 v1, vcc, 0, v1, vcc
	global_store_dword v[0:1], v2, off offset:324
	v_pack_b32_f16 v2, v30, v31
	global_store_dword v[0:1], v2, off offset:664
	v_pack_b32_f16 v2, v44, v21
	global_store_dword v[0:1], v2, off offset:1004
.LBB0_26:
	s_endpgm
	.section	.rodata,"a",@progbits
	.p2align	6, 0x0
	.amdhsa_kernel fft_rtc_back_len1360_factors_17_5_16_wgs_255_tpt_85_halfLds_half_ip_CI_unitstride_sbrr_dirReg
		.amdhsa_group_segment_fixed_size 0
		.amdhsa_private_segment_fixed_size 0
		.amdhsa_kernarg_size 88
		.amdhsa_user_sgpr_count 6
		.amdhsa_user_sgpr_private_segment_buffer 1
		.amdhsa_user_sgpr_dispatch_ptr 0
		.amdhsa_user_sgpr_queue_ptr 0
		.amdhsa_user_sgpr_kernarg_segment_ptr 1
		.amdhsa_user_sgpr_dispatch_id 0
		.amdhsa_user_sgpr_flat_scratch_init 0
		.amdhsa_user_sgpr_private_segment_size 0
		.amdhsa_uses_dynamic_stack 0
		.amdhsa_system_sgpr_private_segment_wavefront_offset 0
		.amdhsa_system_sgpr_workgroup_id_x 1
		.amdhsa_system_sgpr_workgroup_id_y 0
		.amdhsa_system_sgpr_workgroup_id_z 0
		.amdhsa_system_sgpr_workgroup_info 0
		.amdhsa_system_vgpr_workitem_id 0
		.amdhsa_next_free_vgpr 102
		.amdhsa_next_free_sgpr 25
		.amdhsa_reserve_vcc 1
		.amdhsa_reserve_flat_scratch 0
		.amdhsa_float_round_mode_32 0
		.amdhsa_float_round_mode_16_64 0
		.amdhsa_float_denorm_mode_32 3
		.amdhsa_float_denorm_mode_16_64 3
		.amdhsa_dx10_clamp 1
		.amdhsa_ieee_mode 1
		.amdhsa_fp16_overflow 0
		.amdhsa_exception_fp_ieee_invalid_op 0
		.amdhsa_exception_fp_denorm_src 0
		.amdhsa_exception_fp_ieee_div_zero 0
		.amdhsa_exception_fp_ieee_overflow 0
		.amdhsa_exception_fp_ieee_underflow 0
		.amdhsa_exception_fp_ieee_inexact 0
		.amdhsa_exception_int_div_zero 0
	.end_amdhsa_kernel
	.text
.Lfunc_end0:
	.size	fft_rtc_back_len1360_factors_17_5_16_wgs_255_tpt_85_halfLds_half_ip_CI_unitstride_sbrr_dirReg, .Lfunc_end0-fft_rtc_back_len1360_factors_17_5_16_wgs_255_tpt_85_halfLds_half_ip_CI_unitstride_sbrr_dirReg
                                        ; -- End function
	.section	.AMDGPU.csdata,"",@progbits
; Kernel info:
; codeLenInByte = 11928
; NumSgprs: 29
; NumVgprs: 102
; ScratchSize: 0
; MemoryBound: 0
; FloatMode: 240
; IeeeMode: 1
; LDSByteSize: 0 bytes/workgroup (compile time only)
; SGPRBlocks: 3
; VGPRBlocks: 25
; NumSGPRsForWavesPerEU: 29
; NumVGPRsForWavesPerEU: 102
; Occupancy: 2
; WaveLimiterHint : 1
; COMPUTE_PGM_RSRC2:SCRATCH_EN: 0
; COMPUTE_PGM_RSRC2:USER_SGPR: 6
; COMPUTE_PGM_RSRC2:TRAP_HANDLER: 0
; COMPUTE_PGM_RSRC2:TGID_X_EN: 1
; COMPUTE_PGM_RSRC2:TGID_Y_EN: 0
; COMPUTE_PGM_RSRC2:TGID_Z_EN: 0
; COMPUTE_PGM_RSRC2:TIDIG_COMP_CNT: 0
	.type	__hip_cuid_7c65bd86bf08f07,@object ; @__hip_cuid_7c65bd86bf08f07
	.section	.bss,"aw",@nobits
	.globl	__hip_cuid_7c65bd86bf08f07
__hip_cuid_7c65bd86bf08f07:
	.byte	0                               ; 0x0
	.size	__hip_cuid_7c65bd86bf08f07, 1

	.ident	"AMD clang version 19.0.0git (https://github.com/RadeonOpenCompute/llvm-project roc-6.4.0 25133 c7fe45cf4b819c5991fe208aaa96edf142730f1d)"
	.section	".note.GNU-stack","",@progbits
	.addrsig
	.addrsig_sym __hip_cuid_7c65bd86bf08f07
	.amdgpu_metadata
---
amdhsa.kernels:
  - .args:
      - .actual_access:  read_only
        .address_space:  global
        .offset:         0
        .size:           8
        .value_kind:     global_buffer
      - .offset:         8
        .size:           8
        .value_kind:     by_value
      - .actual_access:  read_only
        .address_space:  global
        .offset:         16
        .size:           8
        .value_kind:     global_buffer
      - .actual_access:  read_only
        .address_space:  global
        .offset:         24
        .size:           8
        .value_kind:     global_buffer
      - .offset:         32
        .size:           8
        .value_kind:     by_value
      - .actual_access:  read_only
        .address_space:  global
        .offset:         40
        .size:           8
        .value_kind:     global_buffer
      - .actual_access:  read_only
        .address_space:  global
        .offset:         48
        .size:           8
        .value_kind:     global_buffer
      - .offset:         56
        .size:           4
        .value_kind:     by_value
      - .actual_access:  read_only
        .address_space:  global
        .offset:         64
        .size:           8
        .value_kind:     global_buffer
      - .actual_access:  read_only
        .address_space:  global
        .offset:         72
        .size:           8
        .value_kind:     global_buffer
      - .address_space:  global
        .offset:         80
        .size:           8
        .value_kind:     global_buffer
    .group_segment_fixed_size: 0
    .kernarg_segment_align: 8
    .kernarg_segment_size: 88
    .language:       OpenCL C
    .language_version:
      - 2
      - 0
    .max_flat_workgroup_size: 255
    .name:           fft_rtc_back_len1360_factors_17_5_16_wgs_255_tpt_85_halfLds_half_ip_CI_unitstride_sbrr_dirReg
    .private_segment_fixed_size: 0
    .sgpr_count:     29
    .sgpr_spill_count: 0
    .symbol:         fft_rtc_back_len1360_factors_17_5_16_wgs_255_tpt_85_halfLds_half_ip_CI_unitstride_sbrr_dirReg.kd
    .uniform_work_group_size: 1
    .uses_dynamic_stack: false
    .vgpr_count:     102
    .vgpr_spill_count: 0
    .wavefront_size: 64
amdhsa.target:   amdgcn-amd-amdhsa--gfx906
amdhsa.version:
  - 1
  - 2
...

	.end_amdgpu_metadata
